;; amdgpu-corpus repo=ROCm/rocFFT kind=compiled arch=gfx906 opt=O3
	.text
	.amdgcn_target "amdgcn-amd-amdhsa--gfx906"
	.amdhsa_code_object_version 6
	.protected	fft_rtc_fwd_len750_factors_10_5_3_5_wgs_250_tpt_250_halfLds_half_op_CI_CI_unitstride_sbrr_C2R_dirReg ; -- Begin function fft_rtc_fwd_len750_factors_10_5_3_5_wgs_250_tpt_250_halfLds_half_op_CI_CI_unitstride_sbrr_C2R_dirReg
	.globl	fft_rtc_fwd_len750_factors_10_5_3_5_wgs_250_tpt_250_halfLds_half_op_CI_CI_unitstride_sbrr_C2R_dirReg
	.p2align	8
	.type	fft_rtc_fwd_len750_factors_10_5_3_5_wgs_250_tpt_250_halfLds_half_op_CI_CI_unitstride_sbrr_C2R_dirReg,@function
fft_rtc_fwd_len750_factors_10_5_3_5_wgs_250_tpt_250_halfLds_half_op_CI_CI_unitstride_sbrr_C2R_dirReg: ; @fft_rtc_fwd_len750_factors_10_5_3_5_wgs_250_tpt_250_halfLds_half_op_CI_CI_unitstride_sbrr_C2R_dirReg
; %bb.0:
	s_load_dwordx4 s[8:11], s[4:5], 0x58
	s_load_dwordx4 s[12:15], s[4:5], 0x0
	;; [unrolled: 1-line block ×3, first 2 shown]
	v_mul_u32_u24_e32 v1, 0x107, v0
	v_mov_b32_e32 v8, 0
	v_mov_b32_e32 v6, 0
	s_waitcnt lgkmcnt(0)
	v_cmp_lt_u64_e64 s[0:1], s[14:15], 2
	v_add_u32_sdwa v10, s6, v1 dst_sel:DWORD dst_unused:UNUSED_PAD src0_sel:DWORD src1_sel:WORD_1
	v_mov_b32_e32 v11, v8
	s_and_b64 vcc, exec, s[0:1]
	v_mov_b32_e32 v7, 0
	s_cbranch_vccnz .LBB0_8
; %bb.1:
	s_load_dwordx2 s[0:1], s[4:5], 0x10
	s_add_u32 s2, s18, 8
	s_addc_u32 s3, s19, 0
	s_add_u32 s6, s16, 8
	s_addc_u32 s7, s17, 0
	v_mov_b32_e32 v6, 0
	s_waitcnt lgkmcnt(0)
	s_add_u32 s20, s0, 8
	v_mov_b32_e32 v7, 0
	v_mov_b32_e32 v1, v6
	s_addc_u32 s21, s1, 0
	s_mov_b64 s[22:23], 1
	v_mov_b32_e32 v2, v7
.LBB0_2:                                ; =>This Inner Loop Header: Depth=1
	s_load_dwordx2 s[24:25], s[20:21], 0x0
                                        ; implicit-def: $vgpr3_vgpr4
	s_waitcnt lgkmcnt(0)
	v_or_b32_e32 v9, s25, v11
	v_cmp_ne_u64_e32 vcc, 0, v[8:9]
	s_and_saveexec_b64 s[0:1], vcc
	s_xor_b64 s[26:27], exec, s[0:1]
	s_cbranch_execz .LBB0_4
; %bb.3:                                ;   in Loop: Header=BB0_2 Depth=1
	v_cvt_f32_u32_e32 v3, s24
	v_cvt_f32_u32_e32 v4, s25
	s_sub_u32 s0, 0, s24
	s_subb_u32 s1, 0, s25
	v_mac_f32_e32 v3, 0x4f800000, v4
	v_rcp_f32_e32 v3, v3
	v_mul_f32_e32 v3, 0x5f7ffffc, v3
	v_mul_f32_e32 v4, 0x2f800000, v3
	v_trunc_f32_e32 v4, v4
	v_mac_f32_e32 v3, 0xcf800000, v4
	v_cvt_u32_f32_e32 v4, v4
	v_cvt_u32_f32_e32 v3, v3
	v_mul_lo_u32 v5, s0, v4
	v_mul_hi_u32 v9, s0, v3
	v_mul_lo_u32 v13, s1, v3
	v_mul_lo_u32 v12, s0, v3
	v_add_u32_e32 v5, v9, v5
	v_add_u32_e32 v5, v5, v13
	v_mul_hi_u32 v9, v3, v12
	v_mul_lo_u32 v13, v3, v5
	v_mul_hi_u32 v15, v3, v5
	v_mul_hi_u32 v14, v4, v12
	v_mul_lo_u32 v12, v4, v12
	v_mul_hi_u32 v16, v4, v5
	v_add_co_u32_e32 v9, vcc, v9, v13
	v_addc_co_u32_e32 v13, vcc, 0, v15, vcc
	v_mul_lo_u32 v5, v4, v5
	v_add_co_u32_e32 v9, vcc, v9, v12
	v_addc_co_u32_e32 v9, vcc, v13, v14, vcc
	v_addc_co_u32_e32 v12, vcc, 0, v16, vcc
	v_add_co_u32_e32 v5, vcc, v9, v5
	v_addc_co_u32_e32 v9, vcc, 0, v12, vcc
	v_add_co_u32_e32 v3, vcc, v3, v5
	v_addc_co_u32_e32 v4, vcc, v4, v9, vcc
	v_mul_lo_u32 v5, s0, v4
	v_mul_hi_u32 v9, s0, v3
	v_mul_lo_u32 v12, s1, v3
	v_mul_lo_u32 v13, s0, v3
	v_add_u32_e32 v5, v9, v5
	v_add_u32_e32 v5, v5, v12
	v_mul_lo_u32 v14, v3, v5
	v_mul_hi_u32 v15, v3, v13
	v_mul_hi_u32 v16, v3, v5
	v_mul_hi_u32 v12, v4, v13
	v_mul_lo_u32 v13, v4, v13
	v_mul_hi_u32 v9, v4, v5
	v_add_co_u32_e32 v14, vcc, v15, v14
	v_addc_co_u32_e32 v15, vcc, 0, v16, vcc
	v_mul_lo_u32 v5, v4, v5
	v_add_co_u32_e32 v13, vcc, v14, v13
	v_addc_co_u32_e32 v12, vcc, v15, v12, vcc
	v_addc_co_u32_e32 v9, vcc, 0, v9, vcc
	v_add_co_u32_e32 v5, vcc, v12, v5
	v_addc_co_u32_e32 v9, vcc, 0, v9, vcc
	v_add_co_u32_e32 v5, vcc, v3, v5
	v_addc_co_u32_e32 v9, vcc, v4, v9, vcc
	v_mad_u64_u32 v[3:4], s[0:1], v10, v9, 0
	v_mul_hi_u32 v12, v10, v5
	v_add_co_u32_e32 v14, vcc, v12, v3
	v_addc_co_u32_e32 v15, vcc, 0, v4, vcc
	v_mad_u64_u32 v[3:4], s[0:1], v11, v5, 0
	v_mad_u64_u32 v[12:13], s[0:1], v11, v9, 0
	v_add_co_u32_e32 v3, vcc, v14, v3
	v_addc_co_u32_e32 v3, vcc, v15, v4, vcc
	v_addc_co_u32_e32 v4, vcc, 0, v13, vcc
	v_add_co_u32_e32 v5, vcc, v3, v12
	v_addc_co_u32_e32 v9, vcc, 0, v4, vcc
	v_mul_lo_u32 v12, s25, v5
	v_mul_lo_u32 v13, s24, v9
	v_mad_u64_u32 v[3:4], s[0:1], s24, v5, 0
	v_add3_u32 v4, v4, v13, v12
	v_sub_u32_e32 v12, v11, v4
	v_mov_b32_e32 v13, s25
	v_sub_co_u32_e32 v3, vcc, v10, v3
	v_subb_co_u32_e64 v12, s[0:1], v12, v13, vcc
	v_subrev_co_u32_e64 v13, s[0:1], s24, v3
	v_subbrev_co_u32_e64 v12, s[0:1], 0, v12, s[0:1]
	v_cmp_le_u32_e64 s[0:1], s25, v12
	v_cndmask_b32_e64 v14, 0, -1, s[0:1]
	v_cmp_le_u32_e64 s[0:1], s24, v13
	v_cndmask_b32_e64 v13, 0, -1, s[0:1]
	v_cmp_eq_u32_e64 s[0:1], s25, v12
	v_cndmask_b32_e64 v12, v14, v13, s[0:1]
	v_add_co_u32_e64 v13, s[0:1], 2, v5
	v_addc_co_u32_e64 v14, s[0:1], 0, v9, s[0:1]
	v_add_co_u32_e64 v15, s[0:1], 1, v5
	v_addc_co_u32_e64 v16, s[0:1], 0, v9, s[0:1]
	v_subb_co_u32_e32 v4, vcc, v11, v4, vcc
	v_cmp_ne_u32_e64 s[0:1], 0, v12
	v_cmp_le_u32_e32 vcc, s25, v4
	v_cndmask_b32_e64 v12, v16, v14, s[0:1]
	v_cndmask_b32_e64 v14, 0, -1, vcc
	v_cmp_le_u32_e32 vcc, s24, v3
	v_cndmask_b32_e64 v3, 0, -1, vcc
	v_cmp_eq_u32_e32 vcc, s25, v4
	v_cndmask_b32_e32 v3, v14, v3, vcc
	v_cmp_ne_u32_e32 vcc, 0, v3
	v_cndmask_b32_e64 v3, v15, v13, s[0:1]
	v_cndmask_b32_e32 v4, v9, v12, vcc
	v_cndmask_b32_e32 v3, v5, v3, vcc
.LBB0_4:                                ;   in Loop: Header=BB0_2 Depth=1
	s_andn2_saveexec_b64 s[0:1], s[26:27]
	s_cbranch_execz .LBB0_6
; %bb.5:                                ;   in Loop: Header=BB0_2 Depth=1
	v_cvt_f32_u32_e32 v3, s24
	s_sub_i32 s26, 0, s24
	v_rcp_iflag_f32_e32 v3, v3
	v_mul_f32_e32 v3, 0x4f7ffffe, v3
	v_cvt_u32_f32_e32 v3, v3
	v_mul_lo_u32 v4, s26, v3
	v_mul_hi_u32 v4, v3, v4
	v_add_u32_e32 v3, v3, v4
	v_mul_hi_u32 v3, v10, v3
	v_mul_lo_u32 v4, v3, s24
	v_add_u32_e32 v5, 1, v3
	v_sub_u32_e32 v4, v10, v4
	v_subrev_u32_e32 v9, s24, v4
	v_cmp_le_u32_e32 vcc, s24, v4
	v_cndmask_b32_e32 v4, v4, v9, vcc
	v_cndmask_b32_e32 v3, v3, v5, vcc
	v_add_u32_e32 v5, 1, v3
	v_cmp_le_u32_e32 vcc, s24, v4
	v_cndmask_b32_e32 v3, v3, v5, vcc
	v_mov_b32_e32 v4, v8
.LBB0_6:                                ;   in Loop: Header=BB0_2 Depth=1
	s_or_b64 exec, exec, s[0:1]
	v_mul_lo_u32 v5, v4, s24
	v_mul_lo_u32 v9, v3, s25
	v_mad_u64_u32 v[12:13], s[0:1], v3, s24, 0
	s_load_dwordx2 s[0:1], s[6:7], 0x0
	s_load_dwordx2 s[24:25], s[2:3], 0x0
	v_add3_u32 v5, v13, v9, v5
	v_sub_co_u32_e32 v9, vcc, v10, v12
	v_subb_co_u32_e32 v5, vcc, v11, v5, vcc
	s_waitcnt lgkmcnt(0)
	v_mul_lo_u32 v10, s0, v5
	v_mul_lo_u32 v11, s1, v9
	v_mad_u64_u32 v[6:7], s[0:1], s0, v9, v[6:7]
	s_add_u32 s22, s22, 1
	s_addc_u32 s23, s23, 0
	s_add_u32 s2, s2, 8
	v_mul_lo_u32 v5, s24, v5
	v_mul_lo_u32 v12, s25, v9
	v_mad_u64_u32 v[1:2], s[0:1], s24, v9, v[1:2]
	v_add3_u32 v7, v11, v7, v10
	s_addc_u32 s3, s3, 0
	v_mov_b32_e32 v9, s14
	s_add_u32 s6, s6, 8
	v_mov_b32_e32 v10, s15
	s_addc_u32 s7, s7, 0
	v_cmp_ge_u64_e32 vcc, s[22:23], v[9:10]
	s_add_u32 s20, s20, 8
	v_add3_u32 v2, v12, v2, v5
	s_addc_u32 s21, s21, 0
	s_cbranch_vccnz .LBB0_9
; %bb.7:                                ;   in Loop: Header=BB0_2 Depth=1
	v_mov_b32_e32 v11, v4
	v_mov_b32_e32 v10, v3
	s_branch .LBB0_2
.LBB0_8:
	v_mov_b32_e32 v1, v6
	v_mov_b32_e32 v3, v10
	;; [unrolled: 1-line block ×4, first 2 shown]
.LBB0_9:
	s_load_dwordx2 s[0:1], s[4:5], 0x28
	s_lshl_b64 s[6:7], s[14:15], 3
	s_add_u32 s2, s18, s6
	s_addc_u32 s3, s19, s7
                                        ; implicit-def: $vgpr5
	s_waitcnt lgkmcnt(0)
	v_cmp_gt_u64_e32 vcc, s[0:1], v[3:4]
	v_cmp_le_u64_e64 s[0:1], s[0:1], v[3:4]
	s_and_saveexec_b64 s[4:5], s[0:1]
	s_xor_b64 s[0:1], exec, s[4:5]
; %bb.10:
	s_mov_b32 s4, 0x10624de
	v_mul_hi_u32 v5, v0, s4
                                        ; implicit-def: $vgpr6_vgpr7
	v_mul_u32_u24_e32 v5, 0xfa, v5
	v_sub_u32_e32 v5, v0, v5
                                        ; implicit-def: $vgpr0
; %bb.11:
	s_or_saveexec_b64 s[4:5], s[0:1]
	s_load_dwordx2 s[2:3], s[2:3], 0x0
	s_xor_b64 exec, exec, s[4:5]
	s_cbranch_execz .LBB0_15
; %bb.12:
	s_add_u32 s0, s16, s6
	s_addc_u32 s1, s17, s7
	s_load_dwordx2 s[0:1], s[0:1], 0x0
	s_mov_b32 s6, 0x10624de
	v_mul_hi_u32 v5, v0, s6
	v_lshlrev_b64 v[6:7], 2, v[6:7]
	s_waitcnt lgkmcnt(0)
	v_mul_lo_u32 v10, s1, v3
	v_mul_lo_u32 v11, s0, v4
	v_mad_u64_u32 v[8:9], s[0:1], s0, v3, 0
	v_mul_u32_u24_e32 v5, 0xfa, v5
	v_sub_u32_e32 v5, v0, v5
	v_add3_u32 v9, v9, v11, v10
	v_lshlrev_b64 v[8:9], 2, v[8:9]
	v_mov_b32_e32 v0, s9
	v_add_co_u32_e64 v8, s[0:1], s8, v8
	v_addc_co_u32_e64 v0, s[0:1], v0, v9, s[0:1]
	v_add_co_u32_e64 v6, s[0:1], v8, v6
	v_addc_co_u32_e64 v7, s[0:1], v0, v7, s[0:1]
	v_lshlrev_b32_e32 v0, 2, v5
	v_add_co_u32_e64 v8, s[0:1], v6, v0
	v_addc_co_u32_e64 v9, s[0:1], 0, v7, s[0:1]
	global_load_dword v10, v[8:9], off
	global_load_dword v11, v[8:9], off offset:1000
	global_load_dword v12, v[8:9], off offset:2000
	s_movk_i32 s0, 0xf9
	v_add_u32_e32 v0, 0, v0
	v_cmp_eq_u32_e64 s[0:1], s0, v5
	s_waitcnt vmcnt(1)
	ds_write2_b32 v0, v10, v11 offset1:250
	s_waitcnt vmcnt(0)
	ds_write_b32 v0, v12 offset:2000
	s_and_saveexec_b64 s[6:7], s[0:1]
	s_cbranch_execz .LBB0_14
; %bb.13:
	global_load_dword v0, v[6:7], off offset:3000
	v_mov_b32_e32 v5, 0
	s_waitcnt vmcnt(0)
	ds_write_b32 v5, v0 offset:3000
	v_mov_b32_e32 v5, 0xf9
.LBB0_14:
	s_or_b64 exec, exec, s[6:7]
.LBB0_15:
	s_or_b64 exec, exec, s[4:5]
	v_lshlrev_b32_e32 v10, 2, v5
	v_add_u32_e32 v0, 0, v10
	s_waitcnt lgkmcnt(0)
	s_barrier
	v_sub_u32_e32 v7, 0, v10
	ds_read_u16 v6, v0
	ds_read_u16 v8, v7 offset:3000
	v_cmp_ne_u32_e64 s[0:1], 0, v5
	s_waitcnt lgkmcnt(0)
	v_add_f16_e32 v9, v8, v6
	v_sub_f16_e32 v8, v6, v8
	s_and_saveexec_b64 s[4:5], s[0:1]
	s_xor_b64 s[4:5], exec, s[4:5]
	s_cbranch_execz .LBB0_17
; %bb.16:
	v_mov_b32_e32 v6, 0
	v_lshlrev_b64 v[11:12], 2, v[5:6]
	v_mov_b32_e32 v6, s13
	v_add_co_u32_e64 v11, s[0:1], s12, v11
	v_addc_co_u32_e64 v12, s[0:1], v6, v12, s[0:1]
	global_load_dword v6, v[11:12], off offset:2960
	ds_read_u16 v11, v7 offset:3002
	ds_read_u16 v12, v0 offset:2
	s_waitcnt lgkmcnt(0)
	v_add_f16_e32 v13, v11, v12
	v_sub_f16_e32 v11, v12, v11
	s_waitcnt vmcnt(0)
	v_lshrrev_b32_e32 v12, 16, v6
	v_fma_f16 v14, v8, v12, v9
	v_fma_f16 v15, v13, v12, v11
	v_fma_f16 v9, -v8, v12, v9
	v_fma_f16 v11, v13, v12, -v11
	v_fma_f16 v12, -v6, v13, v14
	v_fma_f16 v14, v8, v6, v15
	v_fma_f16 v9, v6, v13, v9
	;; [unrolled: 1-line block ×3, first 2 shown]
	v_pack_b32_f16 v8, v12, v14
	v_pack_b32_f16 v6, v9, v6
	ds_write_b32 v0, v8
	ds_write_b32 v7, v6 offset:3000
                                        ; implicit-def: $vgpr9
                                        ; implicit-def: $vgpr8
.LBB0_17:
	s_andn2_saveexec_b64 s[0:1], s[4:5]
	s_cbranch_execz .LBB0_19
; %bb.18:
	v_pack_b32_f16 v6, v9, v8
	ds_write_b32 v0, v6
	v_mov_b32_e32 v6, 0
	ds_read_b32 v8, v6 offset:1500
	s_mov_b32 s4, 0xc0004000
	s_waitcnt lgkmcnt(0)
	v_pk_mul_f16 v8, v8, s4
	ds_write_b32 v6, v8 offset:1500
.LBB0_19:
	s_or_b64 exec, exec, s[0:1]
	s_movk_i32 s0, 0x7d
	v_cmp_gt_u32_e64 s[0:1], s0, v5
	s_and_saveexec_b64 s[4:5], s[0:1]
	s_cbranch_execz .LBB0_21
; %bb.20:
	v_mov_b32_e32 v6, 0
	s_add_u32 s0, s12, 0xb90
	v_lshlrev_b64 v[8:9], 2, v[5:6]
	s_addc_u32 s1, s13, 0
	v_mov_b32_e32 v6, s1
	v_add_co_u32_e64 v8, s[0:1], s0, v8
	v_addc_co_u32_e64 v9, s[0:1], v6, v9, s[0:1]
	global_load_dword v6, v[8:9], off offset:1000
	ds_read_b32 v8, v0 offset:1000
	ds_read_b32 v9, v7 offset:2000
	s_waitcnt lgkmcnt(0)
	v_add_f16_e32 v11, v8, v9
	v_add_f16_sdwa v12, v9, v8 dst_sel:DWORD dst_unused:UNUSED_PAD src0_sel:WORD_1 src1_sel:WORD_1
	v_sub_f16_e32 v13, v8, v9
	v_sub_f16_sdwa v8, v8, v9 dst_sel:DWORD dst_unused:UNUSED_PAD src0_sel:WORD_1 src1_sel:WORD_1
	s_waitcnt vmcnt(0)
	v_lshrrev_b32_e32 v9, 16, v6
	v_fma_f16 v14, v13, v9, v11
	v_fma_f16 v15, v12, v9, v8
	v_fma_f16 v11, -v13, v9, v11
	v_fma_f16 v8, v12, v9, -v8
	v_fma_f16 v9, -v6, v12, v14
	v_fma_f16 v14, v13, v6, v15
	v_fma_f16 v11, v6, v12, v11
	;; [unrolled: 1-line block ×3, first 2 shown]
	v_pack_b32_f16 v8, v9, v14
	v_pack_b32_f16 v6, v11, v6
	ds_write_b32 v0, v8 offset:1000
	ds_write_b32 v7, v6 offset:2000
.LBB0_21:
	s_or_b64 exec, exec, s[4:5]
	v_add_u32_e32 v6, 0x400, v0
	v_add_u32_e32 v8, 0x600, v0
	s_waitcnt lgkmcnt(0)
	s_barrier
	s_barrier
	ds_read2_b32 v[6:7], v6 offset0:44 offset1:119
	ds_read2_b32 v[8:9], v8 offset0:66 offset1:141
	;; [unrolled: 1-line block ×3, first 2 shown]
	ds_read2_b32 v[15:16], v0 offset1:75
	s_movk_i32 s0, 0x3b9c
	s_mov_b32 s5, 0xbb9c
	s_movk_i32 s1, 0x38b4
	s_waitcnt lgkmcnt(2)
	v_add_f16_e32 v13, v6, v8
	s_waitcnt lgkmcnt(0)
	v_pk_add_f16 v17, v16, v12
	v_pk_add_f16 v25, v17, v7
	v_add_u32_e32 v17, 0x800, v0
	ds_read2_b32 v[17:18], v17 offset0:88 offset1:163
	v_pk_add_f16 v14, v15, v11
	v_pk_add_f16 v14, v14, v6
	;; [unrolled: 1-line block ×4, first 2 shown]
	s_waitcnt lgkmcnt(0)
	v_sub_f16_sdwa v33, v11, v17 dst_sel:DWORD dst_unused:UNUSED_PAD src0_sel:WORD_1 src1_sel:WORD_1
	v_fma_f16 v13, v13, -0.5, v15
	v_sub_f16_sdwa v20, v6, v8 dst_sel:DWORD dst_unused:UNUSED_PAD src0_sel:WORD_1 src1_sel:WORD_1
	v_sub_f16_e32 v19, v11, v6
	v_sub_f16_e32 v21, v6, v11
	v_add_f16_sdwa v22, v6, v8 dst_sel:DWORD dst_unused:UNUSED_PAD src0_sel:WORD_1 src1_sel:WORD_1
	v_sub_f16_e32 v24, v6, v8
	v_sub_f16_sdwa v23, v11, v6 dst_sel:DWORD dst_unused:UNUSED_PAD src0_sel:WORD_1 src1_sel:WORD_1
	v_sub_f16_sdwa v6, v6, v11 dst_sel:DWORD dst_unused:UNUSED_PAD src0_sel:WORD_1 src1_sel:WORD_1
	v_add_f16_e32 v26, v7, v9
	v_sub_f16_sdwa v27, v7, v9 dst_sel:DWORD dst_unused:UNUSED_PAD src0_sel:WORD_1 src1_sel:WORD_1
	v_sub_f16_e32 v28, v12, v7
	v_sub_f16_e32 v29, v7, v12
	v_add_f16_sdwa v30, v7, v9 dst_sel:DWORD dst_unused:UNUSED_PAD src0_sel:WORD_1 src1_sel:WORD_1
	v_sub_f16_e32 v31, v7, v9
	v_sub_f16_sdwa v32, v12, v7 dst_sel:DWORD dst_unused:UNUSED_PAD src0_sel:WORD_1 src1_sel:WORD_1
	v_sub_f16_sdwa v7, v7, v12 dst_sel:DWORD dst_unused:UNUSED_PAD src0_sel:WORD_1 src1_sel:WORD_1
	v_add_f16_e32 v34, v11, v17
	v_sub_f16_e32 v35, v11, v17
	v_add_f16_sdwa v11, v11, v17 dst_sel:DWORD dst_unused:UNUSED_PAD src0_sel:WORD_1 src1_sel:WORD_1
	v_sub_f16_sdwa v36, v12, v18 dst_sel:DWORD dst_unused:UNUSED_PAD src0_sel:WORD_1 src1_sel:WORD_1
	v_add_f16_e32 v37, v12, v18
	v_sub_f16_e32 v38, v12, v18
	v_add_f16_sdwa v12, v12, v18 dst_sel:DWORD dst_unused:UNUSED_PAD src0_sel:WORD_1 src1_sel:WORD_1
	v_sub_f16_e32 v39, v17, v8
	v_sub_f16_e32 v40, v8, v17
	v_sub_f16_sdwa v41, v17, v8 dst_sel:DWORD dst_unused:UNUSED_PAD src0_sel:WORD_1 src1_sel:WORD_1
	v_sub_f16_sdwa v8, v8, v17 dst_sel:DWORD dst_unused:UNUSED_PAD src0_sel:WORD_1 src1_sel:WORD_1
	v_sub_f16_e32 v42, v18, v9
	v_sub_f16_e32 v43, v9, v18
	v_sub_f16_sdwa v44, v18, v9 dst_sel:DWORD dst_unused:UNUSED_PAD src0_sel:WORD_1 src1_sel:WORD_1
	v_sub_f16_sdwa v9, v9, v18 dst_sel:DWORD dst_unused:UNUSED_PAD src0_sel:WORD_1 src1_sel:WORD_1
	v_pk_add_f16 v14, v14, v17
	v_pk_add_f16 v17, v25, v18
	v_fma_f16 v18, v33, s0, v13
	v_fma_f16 v13, v33, s5, v13
	s_mov_b32 s6, 0xb8b4
	v_add_f16_e32 v19, v19, v39
	v_fma_f16 v18, v20, s1, v18
	s_movk_i32 s4, 0x34f2
	v_fma_f16 v13, v20, s6, v13
	v_fma_f16 v18, v19, s4, v18
	;; [unrolled: 1-line block ×3, first 2 shown]
	v_add_f16_e32 v13, v21, v40
	v_fma_f16 v21, v34, -0.5, v15
	v_fma_f16 v25, v20, s5, v21
	v_fma_f16 v20, v20, s0, v21
	v_lshrrev_b32_e32 v15, 16, v15
	v_fma_f16 v21, v33, s1, v25
	v_fma_f16 v25, v33, s6, v20
	v_fma_f16 v11, v11, -0.5, v15
	v_fma_f16 v20, v13, s4, v21
	v_fma_f16 v21, v13, s4, v25
	v_add_f16_e32 v13, v23, v41
	v_fma_f16 v23, v22, -0.5, v15
	v_add_f16_e32 v6, v6, v8
	v_fma_f16 v8, v24, s0, v11
	v_fma_f16 v22, v35, s5, v23
	v_fma_f16 v23, v35, s0, v23
	v_fma_f16 v11, v24, s5, v11
	v_fma_f16 v8, v35, s6, v8
	v_fma_f16 v22, v24, s6, v22
	v_fma_f16 v23, v24, s1, v23
	v_fma_f16 v11, v35, s1, v11
	v_fma_f16 v24, v6, s4, v8
	v_fma_f16 v8, v26, -0.5, v16
	v_fma_f16 v22, v13, s4, v22
	v_fma_f16 v23, v13, s4, v23
	;; [unrolled: 1-line block ×5, first 2 shown]
	v_fma_f16 v13, v37, -0.5, v16
	v_add_f16_e32 v6, v28, v42
	v_fma_f16 v11, v27, s1, v11
	v_fma_f16 v8, v27, s6, v8
	;; [unrolled: 1-line block ×6, first 2 shown]
	v_add_f16_e32 v8, v29, v43
	v_fma_f16 v15, v36, s1, v15
	v_fma_f16 v13, v36, s6, v13
	;; [unrolled: 1-line block ×4, first 2 shown]
	v_lshrrev_b32_e32 v13, 16, v16
	v_fma_f16 v26, v30, -0.5, v13
	v_fma_f16 v12, v12, -0.5, v13
	v_fma_f16 v27, v38, s5, v26
	v_add_f16_e32 v7, v7, v9
	v_fma_f16 v9, v31, s0, v12
	v_fma_f16 v12, v31, s5, v12
	v_add_f16_e32 v16, v32, v44
	v_fma_f16 v27, v31, s6, v27
	v_fma_f16 v9, v38, s6, v9
	v_fma_f16 v12, v38, s1, v12
	v_fma_f16 v27, v16, s4, v27
	v_fma_f16 v26, v38, s0, v26
	v_fma_f16 v9, v7, s4, v9
	v_fma_f16 v7, v7, s4, v12
	s_movk_i32 s7, 0x3a79
	v_mul_f16_e32 v12, 0x3a79, v11
	v_mul_f16_e32 v11, 0xb8b4, v11
	v_fma_f16 v26, v31, s1, v26
	v_fma_f16 v28, v27, s7, v11
	v_mul_f16_e32 v11, 0x3b9c, v9
	v_fma_f16 v16, v16, s4, v26
	v_fma_f16 v26, v27, s1, v12
	;; [unrolled: 1-line block ×3, first 2 shown]
	v_mul_f16_e32 v11, 0xbb9c, v15
	v_fma_f16 v30, v9, s4, v11
	v_mul_f16_e32 v9, 0x34f2, v8
	v_fma_f16 v29, v7, s0, -v9
	v_mul_f16_e32 v7, 0x34f2, v7
	v_fma_f16 v32, v8, s5, -v7
	;; [unrolled: 2-line block ×4, first 2 shown]
	s_movk_i32 s0, 0x4b
	v_add_f16_e32 v8, v20, v27
	v_add_f16_e32 v9, v21, v29
	;; [unrolled: 1-line block ×3, first 2 shown]
	v_pk_add_f16 v6, v14, v17
	v_cmp_gt_u32_e64 s[0:1], s0, v5
	v_add_f16_e32 v11, v19, v31
	v_add_f16_e32 v12, v22, v28
	;; [unrolled: 1-line block ×5, first 2 shown]
	s_barrier
	s_and_saveexec_b64 s[4:5], s[0:1]
	s_cbranch_execz .LBB0_23
; %bb.22:
	s_mov_b32 s0, 0x5040100
	v_sub_f16_e32 v24, v24, v30
	v_sub_f16_e32 v22, v22, v28
	;; [unrolled: 1-line block ×4, first 2 shown]
	v_mad_u32_u24 v26, v5, 36, v0
	v_pk_add_f16 v14, v14, v17 neg_lo:[0,1] neg_hi:[0,1]
	v_perm_b32 v17, v16, v11, s0
	v_sub_f16_e32 v23, v23, v33
	v_sub_f16_e32 v25, v25, v32
	;; [unrolled: 1-line block ×4, first 2 shown]
	v_perm_b32 v27, v12, v7, s0
	ds_write2_b32 v26, v17, v14 offset0:4 offset1:5
	v_pack_b32_f16 v14, v20, v24
	v_pack_b32_f16 v17, v18, v22
	ds_write2_b32 v26, v6, v27 offset1:1
	v_perm_b32 v27, v15, v9, s0
	v_perm_b32 v28, v13, v8, s0
	ds_write2_b32 v26, v17, v14 offset0:6 offset1:7
	v_pack_b32_f16 v14, v19, v23
	v_pack_b32_f16 v17, v21, v25
	ds_write2_b32 v26, v28, v27 offset0:2 offset1:3
	ds_write2_b32 v26, v17, v14 offset0:8 offset1:9
.LBB0_23:
	s_or_b64 exec, exec, s[4:5]
	s_movk_i32 s0, 0x96
	v_cmp_gt_u32_e64 s[0:1], s0, v5
	v_lshrrev_b32_e32 v14, 16, v6
	s_waitcnt lgkmcnt(0)
	s_barrier
	s_and_saveexec_b64 s[4:5], s[0:1]
	s_cbranch_execz .LBB0_25
; %bb.24:
	ds_read2_b32 v[6:7], v0 offset1:150
	v_add_u32_e32 v8, 0x400, v0
	ds_read2_b32 v[8:9], v8 offset0:44 offset1:194
	ds_read_b32 v11, v0 offset:2400
	ds_read_u16 v14, v0 offset:2
	s_waitcnt lgkmcnt(2)
	v_lshrrev_b32_e32 v13, 16, v8
	v_lshrrev_b32_e32 v12, 16, v7
	;; [unrolled: 1-line block ×3, first 2 shown]
	s_waitcnt lgkmcnt(1)
	v_lshrrev_b32_e32 v16, 16, v11
.LBB0_25:
	s_or_b64 exec, exec, s[4:5]
	s_movk_i32 s4, 0xcd
	v_mul_lo_u16_sdwa v17, v5, s4 dst_sel:DWORD dst_unused:UNUSED_PAD src0_sel:BYTE_0 src1_sel:DWORD
	v_lshrrev_b16_e32 v17, 11, v17
	v_mul_lo_u16_e32 v18, 10, v17
	v_sub_u16_e32 v18, v5, v18
	v_mov_b32_e32 v19, 4
	v_lshlrev_b32_sdwa v19, v19, v18 dst_sel:DWORD dst_unused:UNUSED_PAD src0_sel:DWORD src1_sel:BYTE_0
	global_load_dwordx4 v[20:23], v19, s[12:13]
	s_movk_i32 s4, 0x3b9c
	s_mov_b32 s7, 0xbb9c
	s_movk_i32 s5, 0x38b4
	s_mov_b32 s8, 0xb8b4
	s_movk_i32 s6, 0x34f2
	s_waitcnt vmcnt(0) lgkmcnt(0)
	s_barrier
	v_mul_f16_sdwa v19, v12, v20 dst_sel:DWORD dst_unused:UNUSED_PAD src0_sel:DWORD src1_sel:WORD_1
	v_mul_f16_sdwa v24, v7, v20 dst_sel:DWORD dst_unused:UNUSED_PAD src0_sel:DWORD src1_sel:WORD_1
	;; [unrolled: 1-line block ×8, first 2 shown]
	v_fma_f16 v19, v7, v20, -v19
	v_fma_f16 v20, v12, v20, v24
	v_fma_f16 v8, v8, v21, -v25
	v_fma_f16 v21, v13, v21, v26
	;; [unrolled: 2-line block ×4, first 2 shown]
	v_add_f16_e32 v7, v8, v9
	v_add_f16_e32 v13, v19, v15
	v_sub_f16_e32 v29, v8, v19
	v_sub_f16_e32 v30, v9, v15
	v_add_f16_e32 v31, v21, v22
	v_add_f16_e32 v36, v20, v16
	v_sub_f16_e32 v25, v20, v16
	v_sub_f16_e32 v26, v21, v22
	;; [unrolled: 1-line block ×6, first 2 shown]
	v_fma_f16 v23, v7, -0.5, v6
	v_fma_f16 v24, v13, -0.5, v6
	v_add_f16_e32 v33, v29, v30
	v_fma_f16 v29, v31, -0.5, v14
	v_fma_f16 v30, v36, -0.5, v14
	v_sub_f16_e32 v32, v20, v21
	v_sub_f16_e32 v35, v16, v22
	;; [unrolled: 1-line block ×4, first 2 shown]
	v_add_f16_e32 v34, v11, v12
	v_fma_f16 v7, v25, s7, v23
	v_fma_f16 v11, v26, s4, v24
	;; [unrolled: 1-line block ×4, first 2 shown]
	v_add_f16_e32 v32, v32, v35
	v_add_f16_e32 v31, v37, v38
	v_fma_f16 v7, v26, s8, v7
	v_fma_f16 v35, v25, s8, v11
	;; [unrolled: 1-line block ×8, first 2 shown]
	s_and_saveexec_b64 s[4:5], s[0:1]
	s_cbranch_execz .LBB0_27
; %bb.26:
	v_mul_f16_e32 v38, 0x38b4, v28
	v_mul_f16_e32 v28, 0x3b9c, v28
	v_add_f16_e32 v14, v14, v20
	v_mul_f16_e32 v35, 0x3b9c, v25
	v_mul_f16_e32 v37, 0x3b9c, v27
	v_mul_f16_e32 v27, 0x38b4, v27
	v_add_f16_e32 v28, v28, v30
	v_add_f16_e32 v14, v14, v21
	;; [unrolled: 1-line block ×3, first 2 shown]
	v_mul_f16_e32 v36, 0x38b4, v26
	v_mul_f16_e32 v26, 0x3b9c, v26
	v_sub_f16_e32 v27, v28, v27
	v_sub_f16_e32 v28, v29, v37
	v_add_f16_e32 v14, v14, v22
	v_add_f16_e32 v20, v23, v35
	;; [unrolled: 1-line block ×3, first 2 shown]
	v_mul_f16_e32 v34, 0x34f2, v34
	v_mul_f16_e32 v25, 0x38b4, v25
	;; [unrolled: 1-line block ×3, first 2 shown]
	v_sub_f16_e32 v28, v28, v38
	v_add_f16_e32 v14, v14, v16
	v_sub_f16_e32 v16, v24, v26
	v_add_f16_e32 v20, v36, v20
	v_add_f16_e32 v6, v6, v9
	v_mov_b32_e32 v9, 2
	v_mul_f16_e32 v33, 0x34f2, v33
	v_mul_f16_e32 v31, 0x34f2, v31
	v_add_f16_e32 v28, v32, v28
	v_add_f16_e32 v16, v25, v16
	;; [unrolled: 1-line block ×4, first 2 shown]
	v_mul_u32_u24_e32 v8, 0xc8, v17
	v_lshlrev_b32_sdwa v9, v9, v18 dst_sel:DWORD dst_unused:UNUSED_PAD src0_sel:DWORD src1_sel:BYTE_0
	v_add_f16_e32 v27, v31, v27
	v_add_f16_e32 v16, v33, v16
	v_add3_u32 v8, 0, v8, v9
	v_pack_b32_f16 v6, v6, v14
	v_pack_b32_f16 v9, v20, v28
	s_mov_b32 s6, 0x5040100
	ds_write2_b32 v8, v6, v9 offset1:10
	v_pack_b32_f16 v6, v16, v27
	v_perm_b32 v9, v12, v7, s6
	ds_write2_b32 v8, v6, v9 offset0:20 offset1:30
	v_perm_b32 v6, v13, v11, s6
	ds_write_b32 v8, v6 offset:160
.LBB0_27:
	s_or_b64 exec, exec, s[4:5]
	v_mov_b32_e32 v6, 41
	v_mul_lo_u16_sdwa v6, v5, v6 dst_sel:DWORD dst_unused:UNUSED_PAD src0_sel:BYTE_0 src1_sel:DWORD
	v_lshrrev_b16_e32 v6, 11, v6
	v_mul_lo_u16_e32 v8, 50, v6
	v_sub_u16_e32 v14, v5, v8
	v_mov_b32_e32 v8, 3
	v_lshlrev_b32_sdwa v8, v8, v14 dst_sel:DWORD dst_unused:UNUSED_PAD src0_sel:DWORD src1_sel:BYTE_0
	s_waitcnt lgkmcnt(0)
	s_barrier
	global_load_dwordx2 v[8:9], v8, s[12:13] offset:160
	ds_read2_b32 v[15:16], v0 offset1:250
	ds_read_b32 v17, v0 offset:2000
	v_mov_b32_e32 v18, 2
	v_mul_u32_u24_e32 v6, 0x258, v6
	v_lshlrev_b32_sdwa v14, v18, v14 dst_sel:DWORD dst_unused:UNUSED_PAD src0_sel:DWORD src1_sel:BYTE_0
	v_add3_u32 v18, 0, v6, v14
	s_waitcnt lgkmcnt(0)
	v_lshrrev_b32_e32 v19, 16, v17
	v_lshrrev_b32_e32 v20, 16, v15
	s_movk_i32 s4, 0x3aee
	s_mov_b32 s5, 0xbaee
	s_waitcnt vmcnt(0)
	s_barrier
	v_lshrrev_b32_e32 v6, 16, v8
	v_mul_f16_sdwa v14, v8, v16 dst_sel:DWORD dst_unused:UNUSED_PAD src0_sel:DWORD src1_sel:WORD_1
	v_mul_f16_sdwa v21, v9, v19 dst_sel:DWORD dst_unused:UNUSED_PAD src0_sel:WORD_1 src1_sel:DWORD
	v_mul_f16_sdwa v22, v9, v17 dst_sel:DWORD dst_unused:UNUSED_PAD src0_sel:WORD_1 src1_sel:DWORD
	v_mul_f16_sdwa v23, v6, v16 dst_sel:DWORD dst_unused:UNUSED_PAD src0_sel:DWORD src1_sel:WORD_1
	v_fma_f16 v6, v6, v16, v14
	v_fma_f16 v17, v9, v17, -v21
	v_fma_f16 v9, v9, v19, v22
	v_fma_f16 v8, v8, v16, -v23
	v_sub_f16_e32 v19, v6, v9
	v_add_f16_e32 v14, v6, v20
	v_add_f16_e32 v6, v6, v9
	;; [unrolled: 1-line block ×5, first 2 shown]
	v_fma_f16 v6, v6, -0.5, v20
	v_sub_f16_e32 v9, v8, v17
	v_add_f16_e32 v8, v16, v17
	v_fma_f16 v17, v21, -0.5, v15
	v_fma_f16 v15, v9, s5, v6
	v_fma_f16 v16, v9, s4, v6
	;; [unrolled: 1-line block ×4, first 2 shown]
	v_pack_b32_f16 v17, v8, v14
	v_pack_b32_f16 v19, v9, v15
	;; [unrolled: 1-line block ×3, first 2 shown]
	ds_write2_b32 v18, v17, v19 offset1:50
	ds_write_b32 v18, v20 offset:400
	s_waitcnt lgkmcnt(0)
	s_barrier
	s_and_saveexec_b64 s[4:5], s[0:1]
	s_cbranch_execz .LBB0_29
; %bb.28:
	v_add_u32_e32 v6, 0x400, v0
	ds_read2_b32 v[8:9], v0 offset1:150
	ds_read2_b32 v[6:7], v6 offset0:44 offset1:194
	ds_read_b32 v11, v0 offset:2400
	s_waitcnt lgkmcnt(2)
	v_lshrrev_b32_e32 v15, 16, v9
	s_waitcnt lgkmcnt(1)
	v_lshrrev_b32_e32 v16, 16, v6
	v_lshrrev_b32_e32 v12, 16, v7
	s_waitcnt lgkmcnt(0)
	v_lshrrev_b32_e32 v13, 16, v11
	v_lshrrev_b32_e32 v14, 16, v8
.LBB0_29:
	s_or_b64 exec, exec, s[4:5]
	s_barrier
	s_and_saveexec_b64 s[4:5], s[0:1]
	s_cbranch_execz .LBB0_31
; %bb.30:
	v_add_u32_e32 v17, 0xfffffda8, v10
	v_cndmask_b32_e64 v17, v17, v10, s[0:1]
	v_mov_b32_e32 v18, 0
	v_lshlrev_b64 v[17:18], 2, v[17:18]
	v_mov_b32_e32 v10, s13
	v_add_co_u32_e64 v17, s[0:1], s12, v17
	v_addc_co_u32_e64 v18, s[0:1], v10, v18, s[0:1]
	global_load_dwordx4 v[17:20], v[17:18], off offset:560
	s_mov_b32 s0, 0xbb9c
	s_movk_i32 s7, 0x3b9c
	s_movk_i32 s1, 0x38b4
	;; [unrolled: 1-line block ×3, first 2 shown]
	v_add_u32_e32 v10, 0x400, v0
	s_waitcnt vmcnt(0)
	v_mul_f16_sdwa v21, v6, v18 dst_sel:DWORD dst_unused:UNUSED_PAD src0_sel:DWORD src1_sel:WORD_1
	v_mul_f16_sdwa v22, v9, v17 dst_sel:DWORD dst_unused:UNUSED_PAD src0_sel:DWORD src1_sel:WORD_1
	;; [unrolled: 1-line block ×8, first 2 shown]
	v_fma_f16 v16, v16, v18, v21
	v_fma_f16 v15, v15, v17, v22
	v_fma_f16 v12, v12, v19, v23
	v_fma_f16 v13, v13, v20, v24
	v_fma_f16 v9, v9, v17, -v25
	v_fma_f16 v11, v11, v20, -v26
	;; [unrolled: 1-line block ×4, first 2 shown]
	v_sub_f16_e32 v17, v16, v15
	v_sub_f16_e32 v18, v12, v13
	v_add_f16_e32 v20, v15, v13
	v_sub_f16_e32 v22, v15, v16
	v_sub_f16_e32 v23, v13, v12
	v_add_f16_e32 v24, v16, v12
	v_add_f16_e32 v28, v9, v11
	;; [unrolled: 1-line block ×3, first 2 shown]
	v_sub_f16_e32 v19, v9, v11
	v_add_f16_e32 v25, v14, v15
	v_sub_f16_e32 v26, v6, v9
	v_sub_f16_e32 v27, v7, v11
	;; [unrolled: 1-line block ×4, first 2 shown]
	v_add_f16_e32 v9, v8, v9
	v_add_f16_e32 v17, v17, v18
	v_fma_f16 v18, v20, -0.5, v14
	v_add_f16_e32 v20, v22, v23
	v_fma_f16 v14, v24, -0.5, v14
	v_fma_f16 v23, v28, -0.5, v8
	v_fma_f16 v8, v32, -0.5, v8
	v_sub_f16_e32 v21, v6, v7
	v_sub_f16_e32 v29, v16, v12
	;; [unrolled: 1-line block ×3, first 2 shown]
	v_add_f16_e32 v16, v25, v16
	v_add_f16_e32 v22, v26, v27
	;; [unrolled: 1-line block ×3, first 2 shown]
	v_fma_f16 v25, v19, s7, v14
	v_fma_f16 v14, v19, s0, v14
	v_fma_f16 v26, v15, s0, v8
	v_fma_f16 v8, v15, s7, v8
	v_add_f16_e32 v24, v30, v31
	v_fma_f16 v9, v21, s0, v18
	v_fma_f16 v18, v21, s7, v18
	v_add_f16_e32 v12, v16, v12
	v_fma_f16 v16, v29, s7, v23
	v_fma_f16 v23, v29, s0, v23
	v_add_f16_e32 v6, v6, v7
	v_fma_f16 v14, v21, s8, v14
	v_fma_f16 v8, v29, s1, v8
	v_fma_f16 v7, v19, s1, v9
	v_fma_f16 v9, v19, s8, v18
	v_fma_f16 v18, v21, s1, v25
	v_add_f16_e32 v12, v12, v13
	v_fma_f16 v13, v15, s8, v16
	v_fma_f16 v15, v15, s1, v23
	;; [unrolled: 1-line block ×3, first 2 shown]
	v_add_f16_e32 v6, v6, v11
	v_fma_f16 v14, v20, s6, v14
	v_fma_f16 v8, v24, s6, v8
	;; [unrolled: 1-line block ×8, first 2 shown]
	v_pack_b32_f16 v6, v6, v12
	v_pack_b32_f16 v8, v8, v14
	;; [unrolled: 1-line block ×4, first 2 shown]
	ds_write2_b32 v0, v6, v8 offset1:150
	ds_write2_b32 v10, v9, v7 offset0:44 offset1:194
	v_pack_b32_f16 v6, v16, v11
	ds_write_b32 v0, v6 offset:2400
.LBB0_31:
	s_or_b64 exec, exec, s[4:5]
	s_waitcnt lgkmcnt(0)
	s_barrier
	s_and_saveexec_b64 s[0:1], vcc
	s_cbranch_execz .LBB0_33
; %bb.32:
	v_mul_lo_u32 v0, s3, v3
	v_mul_lo_u32 v6, s2, v4
	v_mad_u64_u32 v[3:4], s[0:1], s2, v3, 0
	v_lshl_add_u32 v9, v5, 2, 0
	ds_read2_b32 v[7:8], v9 offset1:250
	v_add3_u32 v4, v4, v6, v0
	v_lshlrev_b64 v[3:4], 2, v[3:4]
	v_mov_b32_e32 v0, s11
	v_add_co_u32_e32 v3, vcc, s10, v3
	v_addc_co_u32_e32 v4, vcc, v0, v4, vcc
	v_lshlrev_b64 v[0:1], 2, v[1:2]
	v_mov_b32_e32 v6, 0
	v_add_co_u32_e32 v2, vcc, v3, v0
	v_addc_co_u32_e32 v3, vcc, v4, v1, vcc
	v_lshlrev_b64 v[0:1], 2, v[5:6]
	ds_read_b32 v4, v9 offset:2000
	v_add_co_u32_e32 v0, vcc, v2, v0
	v_addc_co_u32_e32 v1, vcc, v3, v1, vcc
	s_waitcnt lgkmcnt(1)
	global_store_dword v[0:1], v7, off
	v_add_u32_e32 v0, 0xfa, v5
	v_mov_b32_e32 v1, v6
	v_lshlrev_b64 v[0:1], 2, v[0:1]
	v_add_u32_e32 v5, 0x1f4, v5
	v_add_co_u32_e32 v0, vcc, v2, v0
	v_addc_co_u32_e32 v1, vcc, v3, v1, vcc
	global_store_dword v[0:1], v8, off
	v_lshlrev_b64 v[0:1], 2, v[5:6]
	v_add_co_u32_e32 v0, vcc, v2, v0
	v_addc_co_u32_e32 v1, vcc, v3, v1, vcc
	s_waitcnt lgkmcnt(0)
	global_store_dword v[0:1], v4, off
.LBB0_33:
	s_endpgm
	.section	.rodata,"a",@progbits
	.p2align	6, 0x0
	.amdhsa_kernel fft_rtc_fwd_len750_factors_10_5_3_5_wgs_250_tpt_250_halfLds_half_op_CI_CI_unitstride_sbrr_C2R_dirReg
		.amdhsa_group_segment_fixed_size 0
		.amdhsa_private_segment_fixed_size 0
		.amdhsa_kernarg_size 104
		.amdhsa_user_sgpr_count 6
		.amdhsa_user_sgpr_private_segment_buffer 1
		.amdhsa_user_sgpr_dispatch_ptr 0
		.amdhsa_user_sgpr_queue_ptr 0
		.amdhsa_user_sgpr_kernarg_segment_ptr 1
		.amdhsa_user_sgpr_dispatch_id 0
		.amdhsa_user_sgpr_flat_scratch_init 0
		.amdhsa_user_sgpr_private_segment_size 0
		.amdhsa_uses_dynamic_stack 0
		.amdhsa_system_sgpr_private_segment_wavefront_offset 0
		.amdhsa_system_sgpr_workgroup_id_x 1
		.amdhsa_system_sgpr_workgroup_id_y 0
		.amdhsa_system_sgpr_workgroup_id_z 0
		.amdhsa_system_sgpr_workgroup_info 0
		.amdhsa_system_vgpr_workitem_id 0
		.amdhsa_next_free_vgpr 45
		.amdhsa_next_free_sgpr 28
		.amdhsa_reserve_vcc 1
		.amdhsa_reserve_flat_scratch 0
		.amdhsa_float_round_mode_32 0
		.amdhsa_float_round_mode_16_64 0
		.amdhsa_float_denorm_mode_32 3
		.amdhsa_float_denorm_mode_16_64 3
		.amdhsa_dx10_clamp 1
		.amdhsa_ieee_mode 1
		.amdhsa_fp16_overflow 0
		.amdhsa_exception_fp_ieee_invalid_op 0
		.amdhsa_exception_fp_denorm_src 0
		.amdhsa_exception_fp_ieee_div_zero 0
		.amdhsa_exception_fp_ieee_overflow 0
		.amdhsa_exception_fp_ieee_underflow 0
		.amdhsa_exception_fp_ieee_inexact 0
		.amdhsa_exception_int_div_zero 0
	.end_amdhsa_kernel
	.text
.Lfunc_end0:
	.size	fft_rtc_fwd_len750_factors_10_5_3_5_wgs_250_tpt_250_halfLds_half_op_CI_CI_unitstride_sbrr_C2R_dirReg, .Lfunc_end0-fft_rtc_fwd_len750_factors_10_5_3_5_wgs_250_tpt_250_halfLds_half_op_CI_CI_unitstride_sbrr_C2R_dirReg
                                        ; -- End function
	.section	.AMDGPU.csdata,"",@progbits
; Kernel info:
; codeLenInByte = 5244
; NumSgprs: 32
; NumVgprs: 45
; ScratchSize: 0
; MemoryBound: 0
; FloatMode: 240
; IeeeMode: 1
; LDSByteSize: 0 bytes/workgroup (compile time only)
; SGPRBlocks: 3
; VGPRBlocks: 11
; NumSGPRsForWavesPerEU: 32
; NumVGPRsForWavesPerEU: 45
; Occupancy: 5
; WaveLimiterHint : 1
; COMPUTE_PGM_RSRC2:SCRATCH_EN: 0
; COMPUTE_PGM_RSRC2:USER_SGPR: 6
; COMPUTE_PGM_RSRC2:TRAP_HANDLER: 0
; COMPUTE_PGM_RSRC2:TGID_X_EN: 1
; COMPUTE_PGM_RSRC2:TGID_Y_EN: 0
; COMPUTE_PGM_RSRC2:TGID_Z_EN: 0
; COMPUTE_PGM_RSRC2:TIDIG_COMP_CNT: 0
	.type	__hip_cuid_d7b9389bf591e5cc,@object ; @__hip_cuid_d7b9389bf591e5cc
	.section	.bss,"aw",@nobits
	.globl	__hip_cuid_d7b9389bf591e5cc
__hip_cuid_d7b9389bf591e5cc:
	.byte	0                               ; 0x0
	.size	__hip_cuid_d7b9389bf591e5cc, 1

	.ident	"AMD clang version 19.0.0git (https://github.com/RadeonOpenCompute/llvm-project roc-6.4.0 25133 c7fe45cf4b819c5991fe208aaa96edf142730f1d)"
	.section	".note.GNU-stack","",@progbits
	.addrsig
	.addrsig_sym __hip_cuid_d7b9389bf591e5cc
	.amdgpu_metadata
---
amdhsa.kernels:
  - .args:
      - .actual_access:  read_only
        .address_space:  global
        .offset:         0
        .size:           8
        .value_kind:     global_buffer
      - .offset:         8
        .size:           8
        .value_kind:     by_value
      - .actual_access:  read_only
        .address_space:  global
        .offset:         16
        .size:           8
        .value_kind:     global_buffer
      - .actual_access:  read_only
        .address_space:  global
        .offset:         24
        .size:           8
        .value_kind:     global_buffer
      - .actual_access:  read_only
        .address_space:  global
        .offset:         32
        .size:           8
        .value_kind:     global_buffer
      - .offset:         40
        .size:           8
        .value_kind:     by_value
      - .actual_access:  read_only
        .address_space:  global
        .offset:         48
        .size:           8
        .value_kind:     global_buffer
      - .actual_access:  read_only
        .address_space:  global
        .offset:         56
        .size:           8
        .value_kind:     global_buffer
      - .offset:         64
        .size:           4
        .value_kind:     by_value
      - .actual_access:  read_only
        .address_space:  global
        .offset:         72
        .size:           8
        .value_kind:     global_buffer
      - .actual_access:  read_only
        .address_space:  global
        .offset:         80
        .size:           8
        .value_kind:     global_buffer
      - .actual_access:  read_only
        .address_space:  global
        .offset:         88
        .size:           8
        .value_kind:     global_buffer
      - .actual_access:  write_only
        .address_space:  global
        .offset:         96
        .size:           8
        .value_kind:     global_buffer
    .group_segment_fixed_size: 0
    .kernarg_segment_align: 8
    .kernarg_segment_size: 104
    .language:       OpenCL C
    .language_version:
      - 2
      - 0
    .max_flat_workgroup_size: 250
    .name:           fft_rtc_fwd_len750_factors_10_5_3_5_wgs_250_tpt_250_halfLds_half_op_CI_CI_unitstride_sbrr_C2R_dirReg
    .private_segment_fixed_size: 0
    .sgpr_count:     32
    .sgpr_spill_count: 0
    .symbol:         fft_rtc_fwd_len750_factors_10_5_3_5_wgs_250_tpt_250_halfLds_half_op_CI_CI_unitstride_sbrr_C2R_dirReg.kd
    .uniform_work_group_size: 1
    .uses_dynamic_stack: false
    .vgpr_count:     45
    .vgpr_spill_count: 0
    .wavefront_size: 64
amdhsa.target:   amdgcn-amd-amdhsa--gfx906
amdhsa.version:
  - 1
  - 2
...

	.end_amdgpu_metadata
